;; amdgpu-corpus repo=ROCm/rocFFT kind=compiled arch=gfx950 opt=O3
	.text
	.amdgcn_target "amdgcn-amd-amdhsa--gfx950"
	.amdhsa_code_object_version 6
	.protected	fft_rtc_fwd_len192_factors_2_2_3_4_4_wgs_192_tpt_12_dim3_sp_ip_CI_unitstride_sbrr_dirReg ; -- Begin function fft_rtc_fwd_len192_factors_2_2_3_4_4_wgs_192_tpt_12_dim3_sp_ip_CI_unitstride_sbrr_dirReg
	.globl	fft_rtc_fwd_len192_factors_2_2_3_4_4_wgs_192_tpt_12_dim3_sp_ip_CI_unitstride_sbrr_dirReg
	.p2align	8
	.type	fft_rtc_fwd_len192_factors_2_2_3_4_4_wgs_192_tpt_12_dim3_sp_ip_CI_unitstride_sbrr_dirReg,@function
fft_rtc_fwd_len192_factors_2_2_3_4_4_wgs_192_tpt_12_dim3_sp_ip_CI_unitstride_sbrr_dirReg: ; @fft_rtc_fwd_len192_factors_2_2_3_4_4_wgs_192_tpt_12_dim3_sp_ip_CI_unitstride_sbrr_dirReg
; %bb.0:
	s_load_dwordx4 s[4:7], s[0:1], 0x8
	v_mul_u32_u24_e32 v1, 0x1556, v0
	v_lshrrev_b32_e32 v36, 16, v1
	v_mov_b32_e32 v5, 0
	v_mov_b64_e32 v[2:3], 0
	s_waitcnt lgkmcnt(0)
	s_load_dwordx2 s[8:9], s[4:5], 0x8
	v_lshl_add_u32 v4, s2, 4, v36
	v_mov_b64_e32 v[6:7], v[2:3]
	s_waitcnt lgkmcnt(0)
	v_cmp_le_u64_e32 vcc, s[8:9], v[4:5]
	s_and_saveexec_b64 s[2:3], vcc
	s_cbranch_execz .LBB0_2
; %bb.1:
	v_cvt_f32_u32_e32 v1, s8
	s_sub_i32 s10, 0, s8
	v_rcp_iflag_f32_e32 v1, v1
	s_nop 0
	v_mul_f32_e32 v1, 0x4f7ffffe, v1
	v_cvt_u32_f32_e32 v1, v1
	v_mul_lo_u32 v6, s10, v1
	v_mul_hi_u32 v6, v1, v6
	v_add_u32_e32 v1, v1, v6
	v_mul_hi_u32 v1, v4, v1
	v_mul_lo_u32 v6, v1, s8
	v_sub_u32_e32 v6, v4, v6
	v_add_u32_e32 v7, 1, v1
	v_subrev_u32_e32 v8, s8, v6
	v_cmp_le_u32_e32 vcc, s8, v6
	s_nop 1
	v_cndmask_b32_e32 v6, v6, v8, vcc
	v_cndmask_b32_e32 v1, v1, v7, vcc
	v_add_u32_e32 v7, 1, v1
	v_cmp_le_u32_e32 vcc, s8, v6
	s_nop 1
	v_cndmask_b32_e32 v6, v1, v7, vcc
	v_mov_b32_e32 v7, v5
.LBB0_2:
	s_or_b64 exec, exec, s[2:3]
	s_load_dwordx2 s[10:11], s[4:5], 0x10
	s_load_dwordx2 s[12:13], s[6:7], 0x8
	s_waitcnt lgkmcnt(0)
	v_cmp_le_u64_e32 vcc, s[10:11], v[6:7]
	s_and_saveexec_b64 s[2:3], vcc
	s_cbranch_execz .LBB0_4
; %bb.3:
	v_cvt_f32_u32_e32 v1, s10
	s_sub_i32 s4, 0, s10
	v_rcp_iflag_f32_e32 v1, v1
	s_nop 0
	v_mul_f32_e32 v1, 0x4f7ffffe, v1
	v_cvt_u32_f32_e32 v1, v1
	v_mul_lo_u32 v2, s4, v1
	v_mul_hi_u32 v2, v1, v2
	v_add_u32_e32 v1, v1, v2
	v_mul_hi_u32 v1, v6, v1
	v_mul_lo_u32 v2, v1, s10
	v_sub_u32_e32 v2, v6, v2
	v_add_u32_e32 v3, 1, v1
	v_subrev_u32_e32 v5, s10, v2
	v_cmp_le_u32_e32 vcc, s10, v2
	s_nop 1
	v_cndmask_b32_e32 v2, v2, v5, vcc
	v_cndmask_b32_e32 v1, v1, v3, vcc
	v_add_u32_e32 v3, 1, v1
	v_cmp_le_u32_e32 vcc, s10, v2
	s_nop 1
	v_cndmask_b32_e32 v2, v1, v3, vcc
	v_mov_b32_e32 v3, 0
.LBB0_4:
	s_or_b64 exec, exec, s[2:3]
	v_mad_u64_u32 v[8:9], s[4:5], v6, s8, 0
	v_mov_b32_e32 v10, v9
	v_mad_u64_u32 v[10:11], s[4:5], v6, s9, v[10:11]
	v_mov_b32_e32 v1, v10
	v_sub_co_u32_e32 v4, vcc, v4, v8
	v_mul_lo_u32 v8, s13, v4
	s_nop 0
	v_subb_co_u32_e32 v1, vcc, 0, v1, vcc
	v_mul_lo_u32 v1, s12, v1
	v_mad_u64_u32 v[4:5], s[4:5], s12, v4, 0
	s_load_dwordx2 s[2:3], s[0:1], 0x0
	v_add3_u32 v5, v5, v1, v8
	s_load_dwordx2 s[4:5], s[0:1], 0x48
	s_load_dwordx2 s[12:13], s[0:1], 0x18
	v_mad_u64_u32 v[8:9], s[0:1], v2, s10, 0
	v_mov_b32_e32 v10, v9
	v_mad_u64_u32 v[10:11], s[0:1], v2, s11, v[10:11]
	s_load_dwordx4 s[8:11], s[6:7], 0x10
	v_mov_b32_e32 v1, v10
	v_sub_co_u32_e32 v6, vcc, v6, v8
	s_movk_i32 s6, 0x1556
	s_nop 0
	v_subb_co_u32_e32 v1, vcc, v7, v1, vcc
	s_waitcnt lgkmcnt(0)
	v_mad_u64_u32 v[4:5], s[0:1], s8, v6, v[4:5]
	v_mul_lo_u32 v1, s8, v1
	v_mul_lo_u32 v6, s9, v6
	v_add3_u32 v5, v6, v5, v1
	v_mad_u64_u32 v[4:5], s[0:1], s10, v2, v[4:5]
	v_mov_b32_e32 v6, v5
	v_mad_u64_u32 v[6:7], s[0:1], s11, v2, v[6:7]
	v_cmp_gt_u64_e32 vcc, s[12:13], v[2:3]
	v_cmp_le_u64_e64 s[0:1], s[12:13], v[2:3]
	v_mul_u32_u24_sdwa v1, v0, s6 dst_sel:DWORD dst_unused:UNUSED_PAD src0_sel:WORD_0 src1_sel:DWORD
	v_mov_b32_e32 v2, 12
	v_mul_lo_u16_sdwa v1, v1, v2 dst_sel:DWORD dst_unused:UNUSED_PAD src0_sel:WORD_1 src1_sel:DWORD
	v_sub_u16_e32 v44, v0, v1
	v_or_b32_e32 v50, 48, v44
                                        ; implicit-def: $sgpr6_sgpr7
	s_and_saveexec_b64 s[8:9], s[0:1]
	s_xor_b64 s[0:1], exec, s[8:9]
; %bb.5:
	v_or_b32_e32 v50, 48, v44
	s_mov_b64 s[6:7], 0
; %bb.6:
	s_or_saveexec_b64 s[0:1], s[0:1]
	v_mov_b32_e32 v5, v6
	v_mov_b64_e32 v[20:21], s[6:7]
	v_lshl_add_u64 v[32:33], v[4:5], 3, s[4:5]
	v_lshlrev_b32_e32 v34, 3, v44
	v_mov_b64_e32 v[18:19], s[6:7]
	v_mov_b64_e32 v[14:15], s[6:7]
	;; [unrolled: 1-line block ×7, first 2 shown]
                                        ; implicit-def: $vgpr30
                                        ; implicit-def: $vgpr28
                                        ; implicit-def: $vgpr26
                                        ; implicit-def: $vgpr24
                                        ; implicit-def: $vgpr16
                                        ; implicit-def: $vgpr12
                                        ; implicit-def: $vgpr6
                                        ; implicit-def: $vgpr22
	s_xor_b64 exec, exec, s[0:1]
	s_cbranch_execz .LBB0_8
; %bb.7:
	v_mov_b32_e32 v35, 0
	v_lshl_add_u64 v[6:7], v[32:33], 0, v[34:35]
	global_load_dwordx2 v[20:21], v[6:7], off
	global_load_dwordx2 v[18:19], v[6:7], off offset:96
	global_load_dwordx2 v[14:15], v[6:7], off offset:192
	;; [unrolled: 1-line block ×14, first 2 shown]
	s_nop 0
	global_load_dwordx2 v[6:7], v[6:7], off offset:1440
.LBB0_8:
	s_or_b64 exec, exec, s[0:1]
	v_and_b32_e32 v35, 15, v36
	v_mul_u32_u24_e32 v35, 0xc0, v35
	v_lshlrev_b32_e32 v49, 3, v35
	v_add_u32_e32 v48, 0, v49
	s_waitcnt vmcnt(11)
	v_pk_add_f32 v[30:31], v[20:21], v[30:31] neg_lo:[0,1] neg_hi:[0,1]
	v_lshl_add_u32 v35, v44, 4, v48
	v_pk_fma_f32 v[20:21], v[20:21], 2.0, v[30:31] op_sel_hi:[1,0,1] neg_lo:[0,0,1] neg_hi:[0,0,1]
	ds_write2_b64 v35, v[20:21], v[30:31] offset1:1
	v_add_u32_e32 v52, 12, v44
	s_waitcnt vmcnt(10)
	v_pk_add_f32 v[20:21], v[18:19], v[28:29] neg_lo:[0,1] neg_hi:[0,1]
	v_lshl_add_u32 v30, v52, 4, v48
	v_pk_fma_f32 v[18:19], v[18:19], 2.0, v[20:21] op_sel_hi:[1,0,1] neg_lo:[0,0,1] neg_hi:[0,0,1]
	ds_write2_b64 v30, v[18:19], v[20:21] offset1:1
	;; [unrolled: 6-line block ×4, first 2 shown]
	s_waitcnt vmcnt(3)
	v_pk_add_f32 v[10:11], v[8:9], v[22:23] neg_lo:[0,1] neg_hi:[0,1]
	v_lshl_add_u32 v14, v50, 4, v48
	v_pk_fma_f32 v[8:9], v[8:9], 2.0, v[10:11] op_sel_hi:[1,0,1] neg_lo:[0,0,1] neg_hi:[0,0,1]
	ds_write2_b64 v14, v[8:9], v[10:11] offset1:1
	v_add_u32_e32 v10, 60, v44
	s_waitcnt vmcnt(2)
	v_pk_add_f32 v[8:9], v[4:5], v[16:17] neg_lo:[0,1] neg_hi:[0,1]
	v_lshl_add_u32 v11, v10, 4, v48
	v_pk_fma_f32 v[4:5], v[4:5], 2.0, v[8:9] op_sel_hi:[1,0,1] neg_lo:[0,0,1] neg_hi:[0,0,1]
	ds_write2_b64 v11, v[4:5], v[8:9] offset1:1
	v_add_u32_e32 v8, 0x48, v44
	;; [unrolled: 6-line block ×3, first 2 shown]
	s_waitcnt vmcnt(0)
	v_pk_add_f32 v[0:1], v[2:3], v[6:7] neg_lo:[0,1] neg_hi:[0,1]
	v_lshl_add_u32 v5, v4, 4, v48
	v_pk_fma_f32 v[2:3], v[2:3], 2.0, v[0:1] op_sel_hi:[1,0,1] neg_lo:[0,0,1] neg_hi:[0,0,1]
	v_and_b32_e32 v53, 1, v44
	ds_write2_b64 v5, v[2:3], v[0:1] offset1:1
	v_lshlrev_b32_e32 v0, 3, v53
	s_waitcnt lgkmcnt(0)
	s_barrier
	global_load_dwordx2 v[16:17], v0, s[2:3]
	v_add3_u32 v47, 0, v34, v49
	v_lshlrev_b32_e32 v61, 1, v8
	v_add_u32_e32 v8, 0x400, v47
	v_lshlrev_b32_e32 v60, 1, v10
	v_lshlrev_b32_e32 v62, 1, v4
	v_lshl_add_u32 v35, v50, 3, v48
	ds_read2_b64 v[0:3], v47 offset0:96 offset1:108
	ds_read2_b64 v[4:7], v47 offset0:120 offset1:132
	ds_read2_b32 v[18:19], v8 offset0:104 offset1:105
	ds_read2_b64 v[8:11], v47 offset0:144 offset1:156
	ds_read2_b64 v[12:15], v47 offset0:72 offset1:84
	ds_read_b64 v[20:21], v35
	ds_read_b64 v[22:23], v47 offset:1344
	s_waitcnt lgkmcnt(4)
	v_mov_b32_e32 v24, v19
	v_lshlrev_b32_e32 v56, 1, v50
	v_lshlrev_b32_e32 v58, 1, v46
	;; [unrolled: 1-line block ×3, first 2 shown]
	s_movk_i32 s0, 0x7c
	v_lshlrev_b32_e32 v51, 1, v44
	v_lshlrev_b32_e32 v57, 1, v52
	s_movk_i32 s1, 0xbc
	s_waitcnt vmcnt(0)
	v_pk_mul_f32 v[24:25], v[24:25], v[16:17] op_sel_hi:[0,1]
	s_waitcnt lgkmcnt(3)
	v_pk_mul_f32 v[26:27], v[16:17], v[10:11] op_sel:[0,1]
	v_pk_mul_f32 v[28:29], v[16:17], v[8:9] op_sel:[0,1]
	;; [unrolled: 1-line block ×4, first 2 shown]
	v_pk_fma_f32 v[40:41], v[16:17], v[10:11], v[26:27] op_sel:[0,0,1] op_sel_hi:[1,1,0] neg_lo:[0,0,1] neg_hi:[0,0,1]
	v_pk_fma_f32 v[10:11], v[16:17], v[10:11], v[26:27] op_sel:[0,0,1] op_sel_hi:[1,0,0]
	v_pk_fma_f32 v[26:27], v[16:17], v[8:9], v[28:29] op_sel:[0,0,1] op_sel_hi:[1,1,0] neg_lo:[0,0,1] neg_hi:[0,0,1]
	v_pk_fma_f32 v[8:9], v[16:17], v[8:9], v[28:29] op_sel:[0,0,1] op_sel_hi:[1,0,0]
	v_pk_fma_f32 v[28:29], v[16:17], v[6:7], v[30:31] op_sel:[0,0,1] op_sel_hi:[1,1,0] neg_lo:[0,0,1] neg_hi:[0,0,1]
	v_pk_fma_f32 v[30:31], v[16:17], v[6:7], v[30:31] op_sel:[0,0,1] op_sel_hi:[1,0,0]
	v_pk_fma_f32 v[42:43], v[16:17], v[4:5], v[36:37] op_sel:[0,0,1] op_sel_hi:[1,1,0] neg_lo:[0,0,1] neg_hi:[0,0,1]
	v_pk_fma_f32 v[36:37], v[16:17], v[4:5], v[36:37] op_sel:[0,0,1] op_sel_hi:[1,0,0]
	v_pk_mul_f32 v[4:5], v[16:17], v[0:1] op_sel:[0,1]
	v_pk_fma_f32 v[6:7], v[16:17], v[18:19], v[24:25] op_sel:[0,0,1] op_sel_hi:[1,1,0] neg_lo:[0,0,1] neg_hi:[0,0,1]
	v_pk_fma_f32 v[18:19], v[16:17], v[18:19], v[24:25] op_sel:[0,0,1] op_sel_hi:[1,0,0]
	v_pk_mul_f32 v[38:39], v[16:17], v[2:3] op_sel:[0,1]
	v_mov_b32_e32 v7, v19
	v_pk_fma_f32 v[18:19], v[16:17], v[0:1], v[4:5] op_sel:[0,0,1] op_sel_hi:[1,1,0] neg_lo:[0,0,1] neg_hi:[0,0,1]
	v_pk_fma_f32 v[54:55], v[16:17], v[0:1], v[4:5] op_sel:[0,0,1] op_sel_hi:[1,0,0]
	s_waitcnt lgkmcnt(0)
	v_pk_mul_f32 v[0:1], v[16:17], v[22:23] op_sel:[0,1]
	v_pk_fma_f32 v[24:25], v[16:17], v[2:3], v[38:39] op_sel:[0,0,1] op_sel_hi:[1,1,0] neg_lo:[0,0,1] neg_hi:[0,0,1]
	v_pk_fma_f32 v[38:39], v[16:17], v[2:3], v[38:39] op_sel:[0,0,1] op_sel_hi:[1,0,0]
	v_pk_fma_f32 v[2:3], v[16:17], v[22:23], v[0:1] op_sel:[0,0,1] op_sel_hi:[1,1,0] neg_lo:[0,0,1] neg_hi:[0,0,1]
	v_pk_fma_f32 v[4:5], v[16:17], v[22:23], v[0:1] op_sel:[0,0,1] op_sel_hi:[1,0,0]
	v_pk_add_f32 v[0:1], v[14:15], v[6:7] neg_lo:[0,1] neg_hi:[0,1]
	v_mov_b32_e32 v3, v5
	v_pk_add_f32 v[16:17], v[12:13], v[2:3] neg_lo:[0,1] neg_hi:[0,1]
	ds_read2_b64 v[2:5], v47 offset0:36 offset1:60
	v_and_or_b32 v7, v58, s0, v53
	v_and_or_b32 v8, v59, s0, v53
	;; [unrolled: 1-line block ×3, first 2 shown]
	s_movk_i32 s0, 0xfc
	v_and_or_b32 v6, v57, 60, v53
	v_and_or_b32 v19, v60, s0, v53
	;; [unrolled: 1-line block ×5, first 2 shown]
	v_lshl_add_u32 v36, v25, 3, v48
	v_lshl_add_u32 v38, v6, 3, v48
	;; [unrolled: 1-line block ×8, first 2 shown]
	v_add_u32_e32 v48, v48, v34
	v_mov_b32_e32 v29, v31
	v_mov_b32_e32 v27, v9
	ds_read2_b64 v[6:9], v47 offset0:12 offset1:24
	s_waitcnt lgkmcnt(1)
	v_pk_add_f32 v[22:23], v[2:3], v[28:29] neg_lo:[0,1] neg_hi:[0,1]
	ds_read_b64 v[28:29], v48
	v_mov_b32_e32 v41, v11
	v_mov_b32_e32 v43, v37
	;; [unrolled: 1-line block ×4, first 2 shown]
	v_pk_add_f32 v[10:11], v[4:5], v[40:41] neg_lo:[0,1] neg_hi:[0,1]
	v_pk_add_f32 v[26:27], v[20:21], v[26:27] neg_lo:[0,1] neg_hi:[0,1]
	s_waitcnt lgkmcnt(1)
	v_pk_add_f32 v[30:31], v[8:9], v[42:43] neg_lo:[0,1] neg_hi:[0,1]
	v_pk_add_f32 v[24:25], v[6:7], v[24:25] neg_lo:[0,1] neg_hi:[0,1]
	s_waitcnt lgkmcnt(0)
	v_pk_add_f32 v[18:19], v[28:29], v[18:19] neg_lo:[0,1] neg_hi:[0,1]
	v_pk_fma_f32 v[14:15], v[14:15], 2.0, v[0:1] op_sel_hi:[1,0,1] neg_lo:[0,0,1] neg_hi:[0,0,1]
	v_pk_fma_f32 v[12:13], v[12:13], 2.0, v[16:17] op_sel_hi:[1,0,1] neg_lo:[0,0,1] neg_hi:[0,0,1]
	;; [unrolled: 1-line block ×8, first 2 shown]
	s_barrier
	ds_write2_b64 v36, v[28:29], v[18:19] offset1:2
	ds_write2_b64 v38, v[6:7], v[24:25] offset1:2
	;; [unrolled: 1-line block ×8, first 2 shown]
	s_waitcnt lgkmcnt(0)
	s_barrier
	ds_read_b64 v[40:41], v48
	ds_read2_b64 v[4:7], v47 offset0:36 offset1:64
	ds_read2_b64 v[28:31], v47 offset0:128 offset1:140
	;; [unrolled: 1-line block ×6, first 2 shown]
	ds_read_b64 v[38:39], v35
	ds_read_b64 v[42:43], v47 offset:1408
	v_cmp_gt_u16_e64 s[0:1], 4, v44
                                        ; implicit-def: $vgpr36
	s_and_saveexec_b64 s[4:5], s[0:1]
	s_cbranch_execz .LBB0_10
; %bb.9:
	ds_read2_b64 v[0:3], v47 offset0:60 offset1:124
	ds_read_b64 v[36:37], v47 offset:1504
.LBB0_10:
	s_or_b64 exec, exec, s[4:5]
	v_and_b32_e32 v53, 3, v44
	v_lshlrev_b32_e32 v56, 4, v53
	global_load_dwordx2 v[54:55], v56, s[2:3] offset:24
	global_load_dwordx4 v[16:19], v56, s[2:3] offset:16
	s_mov_b32 s4, 0x3f5db3d7
	s_waitcnt lgkmcnt(0)
	s_barrier
	s_waitcnt vmcnt(1)
	v_pk_mul_f32 v[56:57], v[54:55], v[28:29] op_sel:[0,1]
	v_pk_mul_f32 v[60:61], v[54:55], v[30:31] op_sel:[0,1]
	s_waitcnt vmcnt(0)
	v_pk_mul_f32 v[58:59], v[16:17], v[24:25] op_sel:[0,1]
	v_pk_fma_f32 v[62:63], v[54:55], v[28:29], v[56:57] op_sel:[0,0,1] op_sel_hi:[1,1,0] neg_lo:[0,0,1] neg_hi:[0,0,1]
	v_pk_fma_f32 v[28:29], v[54:55], v[28:29], v[56:57] op_sel:[0,0,1] op_sel_hi:[1,0,0]
	v_pk_fma_f32 v[56:57], v[54:55], v[30:31], v[60:61] op_sel:[0,0,1] op_sel_hi:[1,1,0] neg_lo:[0,0,1] neg_hi:[0,0,1]
	v_pk_fma_f32 v[30:31], v[54:55], v[30:31], v[60:61] op_sel:[0,0,1] op_sel_hi:[1,0,0]
	v_pk_mul_f32 v[60:61], v[16:17], v[26:27] op_sel:[0,1]
	v_pk_fma_f32 v[64:65], v[16:17], v[24:25], v[58:59] op_sel:[0,0,1] op_sel_hi:[1,1,0] neg_lo:[0,0,1] neg_hi:[0,0,1]
	v_pk_fma_f32 v[24:25], v[16:17], v[24:25], v[58:59] op_sel:[0,0,1] op_sel_hi:[1,0,0]
	v_pk_fma_f32 v[58:59], v[16:17], v[26:27], v[60:61] op_sel:[0,0,1] op_sel_hi:[1,1,0] neg_lo:[0,0,1] neg_hi:[0,0,1]
	v_pk_fma_f32 v[26:27], v[16:17], v[26:27], v[60:61] op_sel:[0,0,1] op_sel_hi:[1,0,0]
	v_pk_mul_f32 v[60:61], v[54:55], v[42:43] op_sel:[0,1]
	v_lshrrev_b32_e32 v24, 2, v45
	v_pk_fma_f32 v[66:67], v[54:55], v[42:43], v[60:61] op_sel:[0,0,1] op_sel_hi:[1,1,0] neg_lo:[0,0,1] neg_hi:[0,0,1]
	v_pk_fma_f32 v[42:43], v[54:55], v[42:43], v[60:61] op_sel:[0,0,1] op_sel_hi:[1,0,0]
	v_pk_mul_f32 v[60:61], v[16:17], v[14:15] op_sel:[0,1]
	v_mov_b32_e32 v67, v43
	v_pk_fma_f32 v[68:69], v[16:17], v[14:15], v[60:61] op_sel:[0,0,1] op_sel_hi:[1,1,0] neg_lo:[0,0,1] neg_hi:[0,0,1]
	v_pk_fma_f32 v[14:15], v[16:17], v[14:15], v[60:61] op_sel:[0,0,1] op_sel_hi:[1,0,0]
	v_mul_u32_u24_e32 v24, 12, v24
	v_mov_b32_e32 v69, v15
	v_pk_mul_f32 v[14:15], v[16:17], v[6:7] op_sel:[0,1]
	v_or_b32_e32 v24, v24, v53
	v_pk_fma_f32 v[42:43], v[16:17], v[6:7], v[14:15] op_sel:[0,0,1] op_sel_hi:[1,1,0] neg_lo:[0,0,1] neg_hi:[0,0,1]
	v_pk_fma_f32 v[6:7], v[16:17], v[6:7], v[14:15] op_sel:[0,0,1] op_sel_hi:[1,0,0]
	v_lshrrev_b32_e32 v14, 2, v46
	v_lshrrev_b32_e32 v15, 2, v50
	v_mul_u32_u24_e32 v14, 12, v14
	v_mul_lo_u32 v15, v15, 12
	v_mov_b32_e32 v43, v7
	v_lshrrev_b32_e32 v6, 2, v44
	v_lshrrev_b32_e32 v7, 2, v52
	v_or_b32_e32 v14, v14, v53
	v_or_b32_e32 v15, v15, v53
	v_mov_b32_e32 v63, v29
	v_mul_u32_u24_e32 v6, 12, v6
	v_mul_u32_u24_e32 v7, 12, v7
	v_lshlrev_b32_e32 v14, 3, v14
	v_lshlrev_b32_e32 v24, 3, v24
	;; [unrolled: 1-line block ×3, first 2 shown]
	v_mov_b32_e32 v65, v25
	v_or_b32_e32 v6, v6, v53
	v_or_b32_e32 v7, v7, v53
	v_add3_u32 v53, 0, v14, v49
	v_add3_u32 v60, 0, v24, v49
	;; [unrolled: 1-line block ×3, first 2 shown]
	v_pk_add_f32 v[14:15], v[42:43], v[62:63]
	v_pk_add_f32 v[24:25], v[42:43], v[62:63] neg_lo:[0,1] neg_hi:[0,1]
	v_lshlrev_b32_e32 v6, 3, v6
	v_lshlrev_b32_e32 v7, 3, v7
	v_pk_fma_f32 v[14:15], v[14:15], 0.5, v[40:41] op_sel_hi:[1,0,1] neg_lo:[1,0,0] neg_hi:[1,0,0]
	v_pk_mul_f32 v[24:25], v[24:25], s[4:5] op_sel_hi:[1,0]
	v_add3_u32 v50, 0, v6, v49
	v_add3_u32 v52, 0, v7, v49
	v_pk_add_f32 v[6:7], v[40:41], v[42:43]
	v_pk_add_f32 v[28:29], v[14:15], v[24:25] op_sel:[0,1] op_sel_hi:[1,0]
	v_pk_add_f32 v[14:15], v[14:15], v[24:25] op_sel:[0,1] op_sel_hi:[1,0] neg_lo:[0,1] neg_hi:[0,1]
	v_mov_b32_e32 v57, v31
	v_pk_add_f32 v[6:7], v[6:7], v[62:63]
	v_mov_b32_e32 v24, v28
	v_mov_b32_e32 v25, v15
	ds_write2_b64 v50, v[6:7], v[24:25] offset1:4
	v_pk_add_f32 v[24:25], v[64:65], v[56:57]
	v_pk_add_f32 v[30:31], v[64:65], v[56:57] neg_lo:[0,1] neg_hi:[0,1]
	v_pk_add_f32 v[6:7], v[20:21], v[64:65]
	v_pk_fma_f32 v[20:21], v[24:25], 0.5, v[20:21] op_sel_hi:[1,0,1] neg_lo:[1,0,0] neg_hi:[1,0,0]
	v_pk_mul_f32 v[24:25], v[30:31], s[4:5] op_sel_hi:[1,0]
	v_mov_b32_e32 v59, v27
	v_pk_mul_f32 v[26:27], v[54:55], v[8:9] op_sel:[0,1]
	v_pk_add_f32 v[6:7], v[6:7], v[56:57]
	v_pk_add_f32 v[30:31], v[20:21], v[24:25] op_sel:[0,1] op_sel_hi:[1,0]
	v_pk_add_f32 v[20:21], v[20:21], v[24:25] op_sel:[0,1] op_sel_hi:[1,0] neg_lo:[0,1] neg_hi:[0,1]
	v_mov_b32_e32 v15, v29
	v_mov_b32_e32 v28, v30
	;; [unrolled: 1-line block ×4, first 2 shown]
	ds_write_b64 v50, v[14:15] offset:64
	ds_write2_b64 v52, v[6:7], v[28:29] offset1:4
	ds_write_b64 v52, v[20:21] offset:64
	v_pk_fma_f32 v[6:7], v[54:55], v[8:9], v[26:27] op_sel:[0,0,1] op_sel_hi:[1,1,0] neg_lo:[0,0,1] neg_hi:[0,0,1]
	v_pk_fma_f32 v[8:9], v[54:55], v[8:9], v[26:27] op_sel:[0,0,1] op_sel_hi:[1,0,0]
	v_pk_add_f32 v[24:25], v[38:39], v[68:69]
	v_mov_b32_e32 v7, v9
	v_pk_add_f32 v[8:9], v[22:23], v[58:59]
	v_pk_add_f32 v[14:15], v[58:59], v[6:7]
	;; [unrolled: 1-line block ×3, first 2 shown]
	v_pk_add_f32 v[6:7], v[58:59], v[6:7] neg_lo:[0,1] neg_hi:[0,1]
	v_pk_fma_f32 v[14:15], v[14:15], 0.5, v[22:23] op_sel_hi:[1,0,1] neg_lo:[1,0,0] neg_hi:[1,0,0]
	v_pk_mul_f32 v[6:7], v[6:7], s[4:5] op_sel_hi:[1,0]
	v_pk_add_f32 v[24:25], v[24:25], v[66:67]
	v_pk_add_f32 v[20:21], v[14:15], v[6:7] op_sel:[0,1] op_sel_hi:[1,0]
	v_pk_add_f32 v[6:7], v[14:15], v[6:7] op_sel:[0,1] op_sel_hi:[1,0] neg_lo:[0,1] neg_hi:[0,1]
	v_mov_b32_e32 v14, v20
	v_mov_b32_e32 v15, v7
	;; [unrolled: 1-line block ×3, first 2 shown]
	ds_write_b64 v53, v[6:7] offset:64
	v_pk_mul_f32 v[6:7], v[16:17], v[12:13] op_sel:[0,1]
	ds_write2_b64 v53, v[8:9], v[14:15] offset1:4
	v_pk_fma_f32 v[8:9], v[16:17], v[12:13], v[6:7] op_sel:[0,0,1] op_sel_hi:[1,1,0] neg_lo:[0,0,1] neg_hi:[0,0,1]
	v_pk_fma_f32 v[6:7], v[16:17], v[12:13], v[6:7] op_sel:[0,0,1] op_sel_hi:[1,0,0]
	s_nop 0
	v_mov_b32_e32 v9, v7
	v_pk_mul_f32 v[6:7], v[54:55], v[10:11] op_sel:[0,1]
	s_nop 0
	v_pk_fma_f32 v[12:13], v[54:55], v[10:11], v[6:7] op_sel:[0,0,1] op_sel_hi:[1,1,0] neg_lo:[0,0,1] neg_hi:[0,0,1]
	v_pk_fma_f32 v[6:7], v[54:55], v[10:11], v[6:7] op_sel:[0,0,1] op_sel_hi:[1,0,0]
	s_nop 0
	v_mov_b32_e32 v13, v7
	v_pk_add_f32 v[6:7], v[4:5], v[8:9]
	v_pk_add_f32 v[10:11], v[8:9], v[12:13]
	v_pk_add_f32 v[8:9], v[8:9], v[12:13] neg_lo:[0,1] neg_hi:[0,1]
	v_pk_fma_f32 v[4:5], v[10:11], 0.5, v[4:5] op_sel_hi:[1,0,1] neg_lo:[1,0,0] neg_hi:[1,0,0]
	v_pk_mul_f32 v[8:9], v[8:9], s[4:5] op_sel_hi:[1,0]
	v_pk_add_f32 v[6:7], v[6:7], v[12:13]
	v_pk_add_f32 v[10:11], v[4:5], v[8:9] op_sel:[0,1] op_sel_hi:[1,0]
	v_pk_add_f32 v[4:5], v[4:5], v[8:9] op_sel:[0,1] op_sel_hi:[1,0] neg_lo:[0,1] neg_hi:[0,1]
	v_mov_b32_e32 v8, v10
	v_mov_b32_e32 v9, v5
	v_mov_b32_e32 v5, v11
	ds_write2_b64 v60, v[6:7], v[8:9] offset1:4
	ds_write_b64 v60, v[4:5] offset:64
	v_pk_add_f32 v[4:5], v[68:69], v[66:67]
	v_pk_add_f32 v[6:7], v[68:69], v[66:67] neg_lo:[0,1] neg_hi:[0,1]
	v_pk_fma_f32 v[4:5], v[4:5], 0.5, v[38:39] op_sel_hi:[1,0,1] neg_lo:[1,0,0] neg_hi:[1,0,0]
	v_pk_mul_f32 v[6:7], v[6:7], s[4:5] op_sel_hi:[1,0]
	s_nop 0
	v_pk_add_f32 v[8:9], v[4:5], v[6:7] op_sel:[0,1] op_sel_hi:[1,0]
	v_pk_add_f32 v[4:5], v[4:5], v[6:7] op_sel:[0,1] op_sel_hi:[1,0] neg_lo:[0,1] neg_hi:[0,1]
	v_mov_b32_e32 v6, v8
	v_mov_b32_e32 v7, v5
	;; [unrolled: 1-line block ×3, first 2 shown]
	ds_write2_b64 v61, v[24:25], v[6:7] offset1:4
	ds_write_b64 v61, v[4:5] offset:64
	s_and_saveexec_b64 s[6:7], s[0:1]
	s_cbranch_execz .LBB0_12
; %bb.11:
	v_and_b32_e32 v4, 6, v51
	v_lshlrev_b32_e32 v4, 3, v4
	global_load_dwordx2 v[4:5], v4, s[2:3] offset:16
	v_mov_b32_e32 v8, v37
	v_mov_b32_e32 v6, v3
	v_pk_mul_f32 v[8:9], v[8:9], v[18:19] op_sel_hi:[0,1]
	v_pk_fma_f32 v[10:11], v[36:37], v[18:19], v[8:9] op_sel:[0,0,1] op_sel_hi:[1,1,0] neg_lo:[0,0,1] neg_hi:[0,0,1]
	v_pk_fma_f32 v[8:9], v[36:37], v[18:19], v[8:9] op_sel:[0,0,1] op_sel_hi:[0,1,0]
	v_mov_b32_e32 v11, v9
	s_waitcnt vmcnt(0)
	v_pk_mul_f32 v[6:7], v[6:7], v[4:5] op_sel_hi:[0,1]
	v_pk_fma_f32 v[8:9], v[2:3], v[4:5], v[6:7] op_sel:[0,0,1] op_sel_hi:[1,1,0] neg_lo:[0,0,1] neg_hi:[0,0,1]
	v_pk_fma_f32 v[2:3], v[2:3], v[4:5], v[6:7] op_sel:[0,0,1] op_sel_hi:[0,1,0]
	v_mov_b32_e32 v9, v3
	v_pk_add_f32 v[4:5], v[8:9], v[10:11]
	v_pk_add_f32 v[6:7], v[8:9], v[10:11] neg_lo:[0,1] neg_hi:[0,1]
	v_pk_add_f32 v[2:3], v[0:1], v[8:9]
	v_pk_fma_f32 v[0:1], -0.5, v[4:5], v[0:1] op_sel_hi:[0,1,1]
	v_pk_mul_f32 v[4:5], v[6:7], s[4:5] op_sel_hi:[1,0]
	v_pk_add_f32 v[2:3], v[2:3], v[10:11]
	v_pk_add_f32 v[6:7], v[0:1], v[4:5] op_sel:[0,1] op_sel_hi:[1,0]
	v_pk_add_f32 v[0:1], v[0:1], v[4:5] op_sel:[0,1] op_sel_hi:[1,0] neg_lo:[0,1] neg_hi:[0,1]
	v_mov_b32_e32 v4, v6
	v_mov_b32_e32 v5, v1
	;; [unrolled: 1-line block ×3, first 2 shown]
	ds_write2_b64 v47, v[2:3], v[4:5] offset0:180 offset1:184
	ds_write_b64 v47, v[0:1] offset:1504
.LBB0_12:
	s_or_b64 exec, exec, s[6:7]
	s_movk_i32 s0, 0xab
	v_mul_lo_u16_sdwa v2, v45, s0 dst_sel:DWORD dst_unused:UNUSED_PAD src0_sel:BYTE_0 src1_sel:DWORD
	v_lshrrev_b16_e32 v2, 11, v2
	v_mul_lo_u16_e32 v2, 12, v2
	v_mul_lo_u16_sdwa v0, v46, s0 dst_sel:DWORD dst_unused:UNUSED_PAD src0_sel:BYTE_0 src1_sel:DWORD
	v_mov_b32_e32 v60, 3
	v_sub_u16_e32 v61, v45, v2
	v_lshrrev_b16_e32 v0, 11, v0
	v_mul_u32_u24_sdwa v2, v61, v60 dst_sel:DWORD dst_unused:UNUSED_PAD src0_sel:BYTE_0 src1_sel:DWORD
	v_mul_lo_u16_e32 v0, 12, v0
	v_lshlrev_b32_e32 v10, 3, v2
	s_waitcnt lgkmcnt(0)
	s_barrier
	v_sub_u16_e32 v1, v46, v0
	global_load_dwordx4 v[2:5], v10, s[2:3] offset:80
	v_mul_u32_u24_sdwa v0, v1, v60 dst_sel:DWORD dst_unused:UNUSED_PAD src0_sel:BYTE_0 src1_sel:DWORD
	v_lshlrev_b32_e32 v0, 3, v0
	global_load_dwordx4 v[6:9], v0, s[2:3] offset:80
	global_load_dwordx2 v[26:27], v10, s[2:3] offset:96
	global_load_dwordx2 v[28:29], v0, s[2:3] offset:96
	v_mul_u32_u24_e32 v0, 3, v44
	v_lshlrev_b32_e32 v0, 3, v0
	global_load_dwordx4 v[10:13], v0, s[2:3] offset:80
	ds_read2_b64 v[14:17], v47 offset0:72 offset1:84
	ds_read_b64 v[30:31], v35
	ds_read2_b32 v[36:37], v47 offset0:216 offset1:217
	ds_read2_b64 v[18:21], v47 offset0:120 offset1:132
	ds_read2_b64 v[22:25], v47 offset0:168 offset1:180
	v_lshlrev_b32_sdwa v1, v60, v1 dst_sel:DWORD dst_unused:UNUSED_PAD src0_sel:DWORD src1_sel:BYTE_0
	v_add3_u32 v1, 0, v1, v49
	s_waitcnt vmcnt(4) lgkmcnt(4)
	v_pk_mul_f32 v[38:39], v[16:17], v[2:3] op_sel:[0,1]
	s_nop 0
	v_pk_fma_f32 v[42:43], v[16:17], v[2:3], v[38:39] op_sel:[0,0,1] op_sel_hi:[1,1,0] neg_lo:[0,0,1] neg_hi:[0,0,1]
	v_pk_fma_f32 v[16:17], v[16:17], v[2:3], v[38:39] op_sel:[0,0,1] op_sel_hi:[1,0,0]
	v_mov_b32_e32 v2, v5
	s_waitcnt vmcnt(3)
	v_pk_mul_f32 v[40:41], v[14:15], v[6:7] op_sel:[0,1]
	s_waitcnt lgkmcnt(1)
	v_pk_mul_f32 v[2:3], v[20:21], v[2:3] op_sel_hi:[1,0]
	v_pk_fma_f32 v[38:39], v[14:15], v[6:7], v[40:41] op_sel:[0,0,1] op_sel_hi:[1,1,0] neg_lo:[0,0,1] neg_hi:[0,0,1]
	v_pk_fma_f32 v[14:15], v[14:15], v[6:7], v[40:41] op_sel:[0,0,1] op_sel_hi:[1,0,0]
	v_pk_fma_f32 v[40:41], v[20:21], v[4:5], v[2:3] op_sel:[0,0,1] op_sel_hi:[1,1,0] neg_lo:[0,0,1] neg_hi:[0,0,1]
	v_pk_fma_f32 v[20:21], v[20:21], v[4:5], v[2:3] op_sel:[0,0,1] op_sel_hi:[1,0,0]
	v_mov_b32_e32 v2, v9
	v_pk_mul_f32 v[2:3], v[18:19], v[2:3] op_sel_hi:[1,0]
	s_waitcnt vmcnt(2) lgkmcnt(0)
	v_pk_mul_f32 v[4:5], v[24:25], v[26:27] op_sel:[0,1]
	v_pk_fma_f32 v[50:51], v[18:19], v[8:9], v[2:3] op_sel:[0,0,1] op_sel_hi:[1,1,0] neg_lo:[0,0,1] neg_hi:[0,0,1]
	v_pk_fma_f32 v[8:9], v[18:19], v[8:9], v[2:3] op_sel:[0,0,1] op_sel_hi:[1,0,0]
	s_waitcnt vmcnt(1)
	v_pk_mul_f32 v[6:7], v[22:23], v[28:29] op_sel:[0,1]
	v_pk_fma_f32 v[18:19], v[24:25], v[26:27], v[4:5] op_sel:[0,0,1] op_sel_hi:[1,1,0] neg_lo:[0,0,1] neg_hi:[0,0,1]
	v_pk_fma_f32 v[24:25], v[24:25], v[26:27], v[4:5] op_sel:[0,0,1] op_sel_hi:[1,0,0]
	s_waitcnt vmcnt(0)
	v_pk_mul_f32 v[4:5], v[10:11], v[30:31] op_sel:[0,1]
	v_pk_fma_f32 v[26:27], v[22:23], v[28:29], v[6:7] op_sel:[0,0,1] op_sel_hi:[1,1,0] neg_lo:[0,0,1] neg_hi:[0,0,1]
	v_pk_fma_f32 v[22:23], v[22:23], v[28:29], v[6:7] op_sel:[0,0,1] op_sel_hi:[1,0,0]
	v_pk_fma_f32 v[28:29], v[10:11], v[30:31], v[4:5] op_sel:[0,0,1] op_sel_hi:[1,1,0] neg_lo:[0,0,1] neg_hi:[0,0,1]
	v_pk_fma_f32 v[30:31], v[10:11], v[30:31], v[4:5] op_sel:[0,0,1] op_sel_hi:[1,0,0]
	ds_read_b64 v[2:3], v47 offset:768
	v_mov_b32_e32 v29, v31
	global_load_dwordx2 v[30:31], v0, s[2:3] offset:96
	v_mov_b32_e32 v51, v9
	v_mov_b32_e32 v43, v17
	s_waitcnt lgkmcnt(0)
	v_pk_mul_f32 v[6:7], v[12:13], v[2:3] op_sel:[0,1]
	v_mov_b32_e32 v39, v15
	v_pk_fma_f32 v[52:53], v[12:13], v[2:3], v[6:7] op_sel:[0,0,1] op_sel_hi:[1,1,0] neg_lo:[0,0,1] neg_hi:[0,0,1]
	v_pk_fma_f32 v[6:7], v[12:13], v[2:3], v[6:7] op_sel:[0,0,1] op_sel_hi:[1,0,0]
	v_mov_b32_e32 v2, v37
	v_pk_mul_f32 v[2:3], v[2:3], v[12:13] op_sel_hi:[0,1]
	v_pk_fma_f32 v[54:55], v[12:13], v[36:37], v[2:3] op_sel:[0,0,1] op_sel_hi:[1,1,0] neg_lo:[0,0,1] neg_hi:[0,0,1]
	v_pk_fma_f32 v[12:13], v[12:13], v[36:37], v[2:3] op_sel:[0,0,1] op_sel_hi:[1,0,0]
	ds_read2_b64 v[2:5], v47 offset0:36 offset1:60
	v_mov_b32_e32 v53, v7
	v_lshlrev_b32_sdwa v12, v60, v61 dst_sel:DWORD dst_unused:UNUSED_PAD src0_sel:DWORD src1_sel:BYTE_0
	v_add3_u32 v49, 0, v12, v49
	v_mov_b32_e32 v55, v13
	s_waitcnt lgkmcnt(0)
	v_pk_mul_f32 v[36:37], v[10:11], v[4:5] op_sel:[0,1]
	v_mov_b32_e32 v41, v21
	v_pk_fma_f32 v[56:57], v[10:11], v[4:5], v[36:37] op_sel:[0,0,1] op_sel_hi:[1,1,0] neg_lo:[0,0,1] neg_hi:[0,0,1]
	v_pk_fma_f32 v[36:37], v[10:11], v[4:5], v[36:37] op_sel:[0,0,1] op_sel_hi:[1,0,0]
	ds_read2_b64 v[4:7], v47 offset0:144 offset1:156
	v_mov_b32_e32 v57, v37
	v_mov_b32_e32 v19, v25
	v_pk_add_f32 v[24:25], v[2:3], v[40:41] neg_lo:[0,1] neg_hi:[0,1]
	v_mov_b32_e32 v27, v23
	v_pk_add_f32 v[18:19], v[42:43], v[18:19] neg_lo:[0,1] neg_hi:[0,1]
	v_pk_add_f32 v[22:23], v[38:39], v[26:27] neg_lo:[0,1] neg_hi:[0,1]
	v_pk_fma_f32 v[26:27], v[42:43], 2.0, v[18:19] op_sel_hi:[1,0,1] neg_lo:[0,0,1] neg_hi:[0,0,1]
	v_pk_fma_f32 v[38:39], v[38:39], 2.0, v[22:23] op_sel_hi:[1,0,1] neg_lo:[0,0,1] neg_hi:[0,0,1]
	;; [unrolled: 1-line block ×3, first 2 shown]
	s_waitcnt vmcnt(0) lgkmcnt(0)
	v_pk_mul_f32 v[10:11], v[30:31], v[4:5] op_sel:[0,1]
	s_nop 0
	v_pk_fma_f32 v[58:59], v[30:31], v[4:5], v[10:11] op_sel:[0,0,1] op_sel_hi:[1,1,0] neg_lo:[0,0,1] neg_hi:[0,0,1]
	v_pk_fma_f32 v[4:5], v[30:31], v[4:5], v[10:11] op_sel:[0,0,1] op_sel_hi:[1,0,0]
	ds_read2_b64 v[8:11], v47 offset0:12 offset1:24
	v_mov_b32_e32 v59, v5
	ds_read_b64 v[4:5], v48
	v_pk_mul_f32 v[12:13], v[6:7], v[30:31] op_sel:[0,1]
	v_pk_add_f32 v[16:17], v[28:29], v[58:59] neg_lo:[0,1] neg_hi:[0,1]
	v_pk_fma_f32 v[36:37], v[6:7], v[30:31], v[12:13] op_sel:[0,0,1] op_sel_hi:[1,1,0] neg_lo:[0,0,1] neg_hi:[0,0,1]
	v_pk_fma_f32 v[6:7], v[6:7], v[30:31], v[12:13] op_sel:[0,0,1] op_sel_hi:[1,0,0]
	s_waitcnt lgkmcnt(0)
	v_pk_add_f32 v[14:15], v[4:5], v[52:53] neg_lo:[0,1] neg_hi:[0,1]
	v_mov_b32_e32 v37, v7
	v_pk_fma_f32 v[4:5], v[4:5], 2.0, v[14:15] op_sel_hi:[1,0,1] neg_lo:[0,0,1] neg_hi:[0,0,1]
	v_pk_fma_f32 v[20:21], v[28:29], 2.0, v[16:17] op_sel_hi:[1,0,1] neg_lo:[0,0,1] neg_hi:[0,0,1]
	v_pk_add_f32 v[40:41], v[14:15], v[16:17] op_sel:[0,1] op_sel_hi:[1,0] neg_lo:[0,1] neg_hi:[0,1]
	v_pk_add_f32 v[16:17], v[14:15], v[16:17] op_sel:[0,1] op_sel_hi:[1,0]
	v_pk_add_f32 v[6:7], v[8:9], v[54:55] neg_lo:[0,1] neg_hi:[0,1]
	v_pk_add_f32 v[12:13], v[56:57], v[36:37] neg_lo:[0,1] neg_hi:[0,1]
	v_pk_add_f32 v[20:21], v[4:5], v[20:21] neg_lo:[0,1] neg_hi:[0,1]
	v_mov_b32_e32 v41, v17
	v_pk_fma_f32 v[8:9], v[8:9], 2.0, v[6:7] op_sel_hi:[1,0,1] neg_lo:[0,0,1] neg_hi:[0,0,1]
	v_pk_fma_f32 v[30:31], v[56:57], 2.0, v[12:13] op_sel_hi:[1,0,1] neg_lo:[0,0,1] neg_hi:[0,0,1]
	v_pk_fma_f32 v[4:5], v[4:5], 2.0, v[20:21] op_sel_hi:[1,0,1] neg_lo:[0,0,1] neg_hi:[0,0,1]
	v_pk_fma_f32 v[14:15], v[14:15], 2.0, v[40:41] op_sel_hi:[1,0,1] neg_lo:[0,0,1] neg_hi:[0,0,1]
	v_pk_add_f32 v[30:31], v[8:9], v[30:31] neg_lo:[0,1] neg_hi:[0,1]
	s_barrier
	ds_write2_b64 v47, v[4:5], v[14:15] offset1:12
	ds_write2_b64 v47, v[20:21], v[40:41] offset0:24 offset1:36
	v_pk_fma_f32 v[4:5], v[8:9], 2.0, v[30:31] op_sel_hi:[1,0,1] neg_lo:[0,0,1] neg_hi:[0,0,1]
	ds_write_b64 v35, v[4:5]
	v_pk_add_f32 v[4:5], v[6:7], v[12:13] op_sel:[0,1] op_sel_hi:[1,0] neg_lo:[0,1] neg_hi:[0,1]
	v_pk_add_f32 v[8:9], v[6:7], v[12:13] op_sel:[0,1] op_sel_hi:[1,0]
	v_pk_add_f32 v[28:29], v[10:11], v[50:51] neg_lo:[0,1] neg_hi:[0,1]
	v_fma_f32 v6, v6, 2.0, -v4
	v_fma_f32 v7, v7, 2.0, -v9
	v_mov_b32_e32 v5, v9
	v_pk_fma_f32 v[10:11], v[10:11], 2.0, v[28:29] op_sel_hi:[1,0,1] neg_lo:[0,0,1] neg_hi:[0,0,1]
	ds_write2_b64 v47, v[6:7], v[30:31] offset0:60 offset1:72
	ds_write_b64 v47, v[4:5] offset:672
	v_pk_add_f32 v[4:5], v[28:29], v[22:23] op_sel:[0,1] op_sel_hi:[1,0] neg_lo:[0,1] neg_hi:[0,1]
	v_pk_add_f32 v[6:7], v[28:29], v[22:23] op_sel:[0,1] op_sel_hi:[1,0]
	v_pk_add_f32 v[16:17], v[2:3], v[26:27] neg_lo:[0,1] neg_hi:[0,1]
	v_pk_add_f32 v[26:27], v[10:11], v[38:39] neg_lo:[0,1] neg_hi:[0,1]
	v_mov_b32_e32 v5, v7
	v_pk_fma_f32 v[10:11], v[10:11], 2.0, v[26:27] op_sel_hi:[1,0,1] neg_lo:[0,0,1] neg_hi:[0,0,1]
	v_pk_fma_f32 v[6:7], v[28:29], 2.0, v[4:5] op_sel_hi:[1,0,1] neg_lo:[0,0,1] neg_hi:[0,0,1]
	ds_write2_b64 v1, v[10:11], v[6:7] offset0:96 offset1:108
	ds_write2_b64 v1, v[26:27], v[4:5] offset0:120 offset1:132
	v_pk_add_f32 v[4:5], v[24:25], v[18:19] op_sel:[0,1] op_sel_hi:[1,0] neg_lo:[0,1] neg_hi:[0,1]
	v_pk_add_f32 v[6:7], v[24:25], v[18:19] op_sel:[0,1] op_sel_hi:[1,0]
	v_pk_fma_f32 v[2:3], v[2:3], 2.0, v[16:17] op_sel_hi:[1,0,1] neg_lo:[0,0,1] neg_hi:[0,0,1]
	v_mov_b32_e32 v5, v7
	v_pk_fma_f32 v[6:7], v[24:25], 2.0, v[4:5] op_sel_hi:[1,0,1] neg_lo:[0,0,1] neg_hi:[0,0,1]
	ds_write2_b64 v49, v[2:3], v[6:7] offset0:144 offset1:156
	ds_write2_b64 v49, v[16:17], v[4:5] offset0:168 offset1:180
	s_waitcnt lgkmcnt(0)
	s_barrier
	s_and_saveexec_b64 s[0:1], vcc
	s_cbranch_execz .LBB0_14
; %bb.13:
	v_mov_b32_e32 v1, 0
	v_lshl_add_u64 v[6:7], s[2:3], 0, v[0:1]
	v_not_b32_e32 v0, 35
	global_load_dwordx2 v[26:27], v[6:7], off offset:384
	global_load_dwordx4 v[2:5], v[6:7], off offset:368
	v_mov_b32_e32 v6, 0xffffffb8
	v_mad_u32_u24 v0, v45, 3, v0
	v_lshl_add_u64 v[28:29], v[0:1], 3, s[2:3]
	v_mad_u32_u24 v0, v45, 3, v6
	v_lshl_add_u64 v[14:15], v[0:1], 3, s[2:3]
	global_load_dwordx2 v[30:31], v[14:15], off offset:384
	global_load_dwordx4 v[6:9], v[14:15], off offset:368
	global_load_dwordx4 v[10:13], v[28:29], off offset:368
	ds_read2_b64 v[14:17], v47 offset0:36 offset1:60
	ds_read2_b64 v[18:21], v47 offset0:96 offset1:108
	;; [unrolled: 1-line block ×3, first 2 shown]
	ds_read_b64 v[36:37], v35
	global_load_dwordx2 v[28:29], v[28:29], off offset:384
	v_mul_u32_u24_e32 v0, 3, v45
	v_lshlrev_b32_e32 v0, 3, v0
	v_mov_b32_e32 v35, v1
	s_mov_b32 s0, 0x5555556
	global_load_dwordx2 v[52:53], v0, s[2:3] offset:384
	s_waitcnt vmcnt(6) lgkmcnt(1)
	v_pk_mul_f32 v[38:39], v[26:27], v[22:23] op_sel:[0,1]
	s_waitcnt vmcnt(5) lgkmcnt(0)
	v_pk_mul_f32 v[42:43], v[2:3], v[36:37] op_sel:[0,1]
	v_pk_mul_f32 v[40:41], v[4:5], v[18:19] op_sel:[0,1]
	v_pk_fma_f32 v[50:51], v[26:27], v[22:23], v[38:39] op_sel:[0,0,1] op_sel_hi:[1,1,0] neg_lo:[0,0,1] neg_hi:[0,0,1]
	v_pk_fma_f32 v[22:23], v[26:27], v[22:23], v[38:39] op_sel:[0,0,1] op_sel_hi:[1,0,0]
	v_pk_fma_f32 v[26:27], v[2:3], v[36:37], v[42:43] op_sel:[0,0,1] op_sel_hi:[1,1,0] neg_lo:[0,0,1] neg_hi:[0,0,1]
	v_pk_fma_f32 v[36:37], v[2:3], v[36:37], v[42:43] op_sel:[0,0,1] op_sel_hi:[1,0,0]
	s_waitcnt vmcnt(4)
	v_pk_mul_f32 v[2:3], v[30:31], v[24:25] op_sel:[0,1]
	v_pk_fma_f32 v[38:39], v[4:5], v[18:19], v[40:41] op_sel:[0,0,1] op_sel_hi:[1,1,0] neg_lo:[0,0,1] neg_hi:[0,0,1]
	v_pk_fma_f32 v[18:19], v[4:5], v[18:19], v[40:41] op_sel:[0,0,1] op_sel_hi:[1,0,0]
	v_pk_fma_f32 v[40:41], v[24:25], v[30:31], v[2:3] op_sel:[0,0,1] op_sel_hi:[1,1,0] neg_lo:[0,0,1] neg_hi:[0,0,1]
	v_pk_fma_f32 v[24:25], v[24:25], v[30:31], v[2:3] op_sel:[0,0,1] op_sel_hi:[0,1,0]
	s_waitcnt vmcnt(3)
	v_pk_mul_f32 v[2:3], v[8:9], v[20:21] op_sel:[0,1]
	v_mov_b32_e32 v39, v19
	v_pk_fma_f32 v[30:31], v[8:9], v[20:21], v[2:3] op_sel:[0,0,1] op_sel_hi:[1,1,0] neg_lo:[0,0,1] neg_hi:[0,0,1]
	v_pk_fma_f32 v[20:21], v[8:9], v[20:21], v[2:3] op_sel:[0,0,1] op_sel_hi:[1,0,0]
	global_load_dwordx4 v[2:5], v0, s[2:3] offset:368
	v_pk_mul_f32 v[8:9], v[6:7], v[16:17] op_sel:[0,1]
	v_mov_b32_e32 v27, v37
	v_pk_fma_f32 v[42:43], v[6:7], v[16:17], v[8:9] op_sel:[0,0,1] op_sel_hi:[1,1,0] neg_lo:[0,0,1] neg_hi:[0,0,1]
	v_pk_fma_f32 v[16:17], v[6:7], v[16:17], v[8:9] op_sel:[0,0,1] op_sel_hi:[1,0,0]
	ds_read2_b64 v[6:9], v47 offset0:120 offset1:132
	v_mov_b32_e32 v51, v23
	v_mov_b32_e32 v31, v21
	v_pk_add_f32 v[20:21], v[26:27], v[50:51] neg_lo:[0,1] neg_hi:[0,1]
	v_mov_b32_e32 v41, v25
	s_waitcnt vmcnt(3) lgkmcnt(0)
	v_pk_mul_f32 v[18:19], v[12:13], v[6:7] op_sel:[0,1]
	v_pk_fma_f32 v[22:23], v[26:27], 2.0, v[20:21] op_sel_hi:[1,0,1] neg_lo:[0,0,1] neg_hi:[0,0,1]
	v_pk_fma_f32 v[36:37], v[12:13], v[6:7], v[18:19] op_sel:[0,0,1] op_sel_hi:[1,1,0] neg_lo:[0,0,1] neg_hi:[0,0,1]
	v_pk_fma_f32 v[6:7], v[12:13], v[6:7], v[18:19] op_sel:[0,0,1] op_sel_hi:[1,0,0]
	v_lshl_add_u64 v[12:13], v[32:33], 0, v[34:35]
	v_mov_b32_e32 v37, v7
	ds_read_b64 v[6:7], v48
	v_mov_b32_e32 v43, v17
	ds_read2_b64 v[16:19], v47 offset0:72 offset1:84
	v_mul_hi_u32 v0, v46, s0
	v_mul_u32_u24_e32 v0, 0x90, v0
	s_waitcnt lgkmcnt(1)
	v_pk_add_f32 v[34:35], v[6:7], v[38:39] neg_lo:[0,1] neg_hi:[0,1]
	v_pk_add_f32 v[38:39], v[42:43], v[40:41] neg_lo:[0,1] neg_hi:[0,1]
	v_pk_add_f32 v[24:25], v[34:35], v[20:21] op_sel:[0,1] op_sel_hi:[1,0] neg_lo:[0,1] neg_hi:[0,1]
	v_pk_add_f32 v[20:21], v[34:35], v[20:21] op_sel:[0,1] op_sel_hi:[1,0]
	v_pk_fma_f32 v[6:7], v[6:7], 2.0, v[34:35] op_sel_hi:[1,0,1] neg_lo:[0,0,1] neg_hi:[0,0,1]
	v_mov_b32_e32 v25, v21
	v_pk_fma_f32 v[34:35], v[34:35], 2.0, v[24:25] op_sel_hi:[1,0,1] neg_lo:[0,0,1] neg_hi:[0,0,1]
	global_store_dwordx2 v[12:13], v[24:25], off offset:1152
	ds_read2_b64 v[24:27], v47 offset0:12 offset1:24
	v_pk_add_f32 v[22:23], v[6:7], v[22:23] neg_lo:[0,1] neg_hi:[0,1]
	global_store_dwordx2 v[12:13], v[22:23], off offset:768
	v_pk_fma_f32 v[6:7], v[6:7], 2.0, v[22:23] op_sel_hi:[1,0,1] neg_lo:[0,0,1] neg_hi:[0,0,1]
	ds_read2_b64 v[20:23], v47 offset0:168 offset1:180
	s_waitcnt lgkmcnt(1)
	v_pk_add_f32 v[30:31], v[24:25], v[30:31] neg_lo:[0,1] neg_hi:[0,1]
	v_pk_fma_f32 v[40:41], v[42:43], 2.0, v[38:39] op_sel_hi:[1,0,1] neg_lo:[0,0,1] neg_hi:[0,0,1]
	global_store_dwordx2 v[12:13], v[34:35], off offset:384
	v_pk_add_f32 v[34:35], v[30:31], v[38:39] op_sel:[0,1] op_sel_hi:[1,0] neg_lo:[0,1] neg_hi:[0,1]
	v_pk_add_f32 v[38:39], v[30:31], v[38:39] op_sel:[0,1] op_sel_hi:[1,0]
	v_pk_fma_f32 v[24:25], v[24:25], 2.0, v[30:31] op_sel_hi:[1,0,1] neg_lo:[0,0,1] neg_hi:[0,0,1]
	v_mov_b32_e32 v35, v39
	v_pk_add_f32 v[38:39], v[24:25], v[40:41] neg_lo:[0,1] neg_hi:[0,1]
	global_store_dwordx2 v[12:13], v[38:39], off offset:864
	v_pk_fma_f32 v[24:25], v[24:25], 2.0, v[38:39] op_sel_hi:[1,0,1] neg_lo:[0,0,1] neg_hi:[0,0,1]
	v_pk_mul_f32 v[38:39], v[10:11], v[16:17] op_sel:[0,1]
	global_store_dwordx2 v[12:13], v[6:7], off
	v_pk_fma_f32 v[30:31], v[30:31], 2.0, v[34:35] op_sel_hi:[1,0,1] neg_lo:[0,0,1] neg_hi:[0,0,1]
	global_store_dwordx2 v[12:13], v[34:35], off offset:1248
	global_store_dwordx2 v[12:13], v[24:25], off offset:96
	;; [unrolled: 1-line block ×3, first 2 shown]
	v_pk_fma_f32 v[12:13], v[16:17], v[10:11], v[38:39] op_sel:[0,0,1] op_sel_hi:[1,1,0] neg_lo:[0,0,1] neg_hi:[0,0,1]
	v_pk_fma_f32 v[10:11], v[16:17], v[10:11], v[38:39] op_sel:[0,0,1] op_sel_hi:[0,1,0]
	v_mov_b32_e32 v13, v11
	s_waitcnt vmcnt(10) lgkmcnt(0)
	v_pk_mul_f32 v[10:11], v[28:29], v[20:21] op_sel:[0,1]
	v_pk_add_f32 v[36:37], v[26:27], v[36:37] neg_lo:[0,1] neg_hi:[0,1]
	v_pk_fma_f32 v[16:17], v[20:21], v[28:29], v[10:11] op_sel:[0,0,1] op_sel_hi:[1,1,0] neg_lo:[0,0,1] neg_hi:[0,0,1]
	v_pk_fma_f32 v[10:11], v[20:21], v[28:29], v[10:11] op_sel:[0,0,1] op_sel_hi:[0,1,0]
	v_mov_b32_e32 v17, v11
	v_pk_add_f32 v[10:11], v[12:13], v[16:17] neg_lo:[0,1] neg_hi:[0,1]
	v_pk_fma_f32 v[16:17], v[26:27], 2.0, v[36:37] op_sel_hi:[1,0,1] neg_lo:[0,0,1] neg_hi:[0,0,1]
	v_pk_fma_f32 v[12:13], v[12:13], 2.0, v[10:11] op_sel_hi:[1,0,1] neg_lo:[0,0,1] neg_hi:[0,0,1]
	v_add_lshl_u32 v0, v0, v44, 3
	v_pk_add_f32 v[12:13], v[16:17], v[12:13] neg_lo:[0,1] neg_hi:[0,1]
	v_lshl_add_u64 v[6:7], v[32:33], 0, v[0:1]
	v_pk_fma_f32 v[16:17], v[16:17], 2.0, v[12:13] op_sel_hi:[1,0,1] neg_lo:[0,0,1] neg_hi:[0,0,1]
	global_store_dwordx2 v[6:7], v[16:17], off offset:192
	v_pk_add_f32 v[16:17], v[36:37], v[10:11] op_sel:[0,1] op_sel_hi:[1,0] neg_lo:[0,1] neg_hi:[0,1]
	v_pk_add_f32 v[10:11], v[36:37], v[10:11] op_sel:[0,1] op_sel_hi:[1,0]
	v_mul_hi_u32 v0, v45, s0
	v_mov_b32_e32 v17, v11
	v_pk_fma_f32 v[10:11], v[36:37], 2.0, v[16:17] op_sel_hi:[1,0,1] neg_lo:[0,0,1] neg_hi:[0,0,1]
	global_store_dwordx2 v[6:7], v[10:11], off offset:576
	global_store_dwordx2 v[6:7], v[12:13], off offset:960
	;; [unrolled: 1-line block ×3, first 2 shown]
	v_mul_u32_u24_e32 v0, 0x90, v0
	v_add_lshl_u32 v0, v0, v44, 3
	v_lshl_add_u64 v[0:1], v[32:33], 0, v[0:1]
	s_waitcnt vmcnt(12)
	v_pk_mul_f32 v[6:7], v[4:5], v[8:9] op_sel:[0,1]
	s_nop 0
	v_pk_fma_f32 v[10:11], v[4:5], v[8:9], v[6:7] op_sel:[0,0,1] op_sel_hi:[1,1,0] neg_lo:[0,0,1] neg_hi:[0,0,1]
	v_pk_fma_f32 v[4:5], v[4:5], v[8:9], v[6:7] op_sel:[0,0,1] op_sel_hi:[1,0,0]
	v_pk_mul_f32 v[6:7], v[2:3], v[18:19] op_sel:[0,1]
	v_mov_b32_e32 v11, v5
	v_pk_fma_f32 v[8:9], v[18:19], v[2:3], v[6:7] op_sel:[0,0,1] op_sel_hi:[1,1,0] neg_lo:[0,0,1] neg_hi:[0,0,1]
	v_pk_fma_f32 v[2:3], v[18:19], v[2:3], v[6:7] op_sel:[0,0,1] op_sel_hi:[0,1,0]
	v_mov_b32_e32 v9, v3
	v_pk_mul_f32 v[2:3], v[52:53], v[22:23] op_sel:[0,1]
	v_pk_add_f32 v[4:5], v[14:15], v[10:11] neg_lo:[0,1] neg_hi:[0,1]
	v_pk_fma_f32 v[6:7], v[22:23], v[52:53], v[2:3] op_sel:[0,0,1] op_sel_hi:[1,1,0] neg_lo:[0,0,1] neg_hi:[0,0,1]
	v_pk_fma_f32 v[2:3], v[22:23], v[52:53], v[2:3] op_sel:[0,0,1] op_sel_hi:[0,1,0]
	v_mov_b32_e32 v7, v3
	v_pk_add_f32 v[2:3], v[8:9], v[6:7] neg_lo:[0,1] neg_hi:[0,1]
	v_pk_fma_f32 v[6:7], v[14:15], 2.0, v[4:5] op_sel_hi:[1,0,1] neg_lo:[0,0,1] neg_hi:[0,0,1]
	v_pk_fma_f32 v[8:9], v[8:9], 2.0, v[2:3] op_sel_hi:[1,0,1] neg_lo:[0,0,1] neg_hi:[0,0,1]
	s_nop 0
	v_pk_add_f32 v[8:9], v[6:7], v[8:9] neg_lo:[0,1] neg_hi:[0,1]
	s_nop 0
	v_pk_fma_f32 v[6:7], v[6:7], 2.0, v[8:9] op_sel_hi:[1,0,1] neg_lo:[0,0,1] neg_hi:[0,0,1]
	global_store_dwordx2 v[0:1], v[6:7], off offset:288
	v_pk_add_f32 v[6:7], v[4:5], v[2:3] op_sel:[0,1] op_sel_hi:[1,0] neg_lo:[0,1] neg_hi:[0,1]
	v_pk_add_f32 v[2:3], v[4:5], v[2:3] op_sel:[0,1] op_sel_hi:[1,0]
	s_nop 0
	v_mov_b32_e32 v7, v3
	v_pk_fma_f32 v[2:3], v[4:5], 2.0, v[6:7] op_sel_hi:[1,0,1] neg_lo:[0,0,1] neg_hi:[0,0,1]
	global_store_dwordx2 v[0:1], v[2:3], off offset:672
	global_store_dwordx2 v[0:1], v[8:9], off offset:1056
	;; [unrolled: 1-line block ×3, first 2 shown]
.LBB0_14:
	s_endpgm
	.section	.rodata,"a",@progbits
	.p2align	6, 0x0
	.amdhsa_kernel fft_rtc_fwd_len192_factors_2_2_3_4_4_wgs_192_tpt_12_dim3_sp_ip_CI_unitstride_sbrr_dirReg
		.amdhsa_group_segment_fixed_size 0
		.amdhsa_private_segment_fixed_size 0
		.amdhsa_kernarg_size 80
		.amdhsa_user_sgpr_count 2
		.amdhsa_user_sgpr_dispatch_ptr 0
		.amdhsa_user_sgpr_queue_ptr 0
		.amdhsa_user_sgpr_kernarg_segment_ptr 1
		.amdhsa_user_sgpr_dispatch_id 0
		.amdhsa_user_sgpr_kernarg_preload_length 0
		.amdhsa_user_sgpr_kernarg_preload_offset 0
		.amdhsa_user_sgpr_private_segment_size 0
		.amdhsa_uses_dynamic_stack 0
		.amdhsa_enable_private_segment 0
		.amdhsa_system_sgpr_workgroup_id_x 1
		.amdhsa_system_sgpr_workgroup_id_y 0
		.amdhsa_system_sgpr_workgroup_id_z 0
		.amdhsa_system_sgpr_workgroup_info 0
		.amdhsa_system_vgpr_workitem_id 0
		.amdhsa_next_free_vgpr 70
		.amdhsa_next_free_sgpr 14
		.amdhsa_accum_offset 72
		.amdhsa_reserve_vcc 1
		.amdhsa_float_round_mode_32 0
		.amdhsa_float_round_mode_16_64 0
		.amdhsa_float_denorm_mode_32 3
		.amdhsa_float_denorm_mode_16_64 3
		.amdhsa_dx10_clamp 1
		.amdhsa_ieee_mode 1
		.amdhsa_fp16_overflow 0
		.amdhsa_tg_split 0
		.amdhsa_exception_fp_ieee_invalid_op 0
		.amdhsa_exception_fp_denorm_src 0
		.amdhsa_exception_fp_ieee_div_zero 0
		.amdhsa_exception_fp_ieee_overflow 0
		.amdhsa_exception_fp_ieee_underflow 0
		.amdhsa_exception_fp_ieee_inexact 0
		.amdhsa_exception_int_div_zero 0
	.end_amdhsa_kernel
	.text
.Lfunc_end0:
	.size	fft_rtc_fwd_len192_factors_2_2_3_4_4_wgs_192_tpt_12_dim3_sp_ip_CI_unitstride_sbrr_dirReg, .Lfunc_end0-fft_rtc_fwd_len192_factors_2_2_3_4_4_wgs_192_tpt_12_dim3_sp_ip_CI_unitstride_sbrr_dirReg
                                        ; -- End function
	.section	.AMDGPU.csdata,"",@progbits
; Kernel info:
; codeLenInByte = 5276
; NumSgprs: 20
; NumVgprs: 70
; NumAgprs: 0
; TotalNumVgprs: 70
; ScratchSize: 0
; MemoryBound: 0
; FloatMode: 240
; IeeeMode: 1
; LDSByteSize: 0 bytes/workgroup (compile time only)
; SGPRBlocks: 2
; VGPRBlocks: 8
; NumSGPRsForWavesPerEU: 20
; NumVGPRsForWavesPerEU: 70
; AccumOffset: 72
; Occupancy: 7
; WaveLimiterHint : 1
; COMPUTE_PGM_RSRC2:SCRATCH_EN: 0
; COMPUTE_PGM_RSRC2:USER_SGPR: 2
; COMPUTE_PGM_RSRC2:TRAP_HANDLER: 0
; COMPUTE_PGM_RSRC2:TGID_X_EN: 1
; COMPUTE_PGM_RSRC2:TGID_Y_EN: 0
; COMPUTE_PGM_RSRC2:TGID_Z_EN: 0
; COMPUTE_PGM_RSRC2:TIDIG_COMP_CNT: 0
; COMPUTE_PGM_RSRC3_GFX90A:ACCUM_OFFSET: 17
; COMPUTE_PGM_RSRC3_GFX90A:TG_SPLIT: 0
	.text
	.p2alignl 6, 3212836864
	.fill 256, 4, 3212836864
	.type	__hip_cuid_63bbbb5e91f91e4b,@object ; @__hip_cuid_63bbbb5e91f91e4b
	.section	.bss,"aw",@nobits
	.globl	__hip_cuid_63bbbb5e91f91e4b
__hip_cuid_63bbbb5e91f91e4b:
	.byte	0                               ; 0x0
	.size	__hip_cuid_63bbbb5e91f91e4b, 1

	.ident	"AMD clang version 19.0.0git (https://github.com/RadeonOpenCompute/llvm-project roc-6.4.0 25133 c7fe45cf4b819c5991fe208aaa96edf142730f1d)"
	.section	".note.GNU-stack","",@progbits
	.addrsig
	.addrsig_sym __hip_cuid_63bbbb5e91f91e4b
	.amdgpu_metadata
---
amdhsa.kernels:
  - .agpr_count:     0
    .args:
      - .actual_access:  read_only
        .address_space:  global
        .offset:         0
        .size:           8
        .value_kind:     global_buffer
      - .actual_access:  read_only
        .address_space:  global
        .offset:         8
        .size:           8
        .value_kind:     global_buffer
      - .actual_access:  read_only
        .address_space:  global
        .offset:         16
        .size:           8
        .value_kind:     global_buffer
      - .offset:         24
        .size:           8
        .value_kind:     by_value
      - .actual_access:  read_only
        .address_space:  global
        .offset:         32
        .size:           8
        .value_kind:     global_buffer
      - .actual_access:  read_only
        .address_space:  global
        .offset:         40
        .size:           8
        .value_kind:     global_buffer
      - .offset:         48
        .size:           4
        .value_kind:     by_value
      - .actual_access:  read_only
        .address_space:  global
        .offset:         56
        .size:           8
        .value_kind:     global_buffer
      - .actual_access:  read_only
        .address_space:  global
        .offset:         64
        .size:           8
        .value_kind:     global_buffer
      - .address_space:  global
        .offset:         72
        .size:           8
        .value_kind:     global_buffer
    .group_segment_fixed_size: 0
    .kernarg_segment_align: 8
    .kernarg_segment_size: 80
    .language:       OpenCL C
    .language_version:
      - 2
      - 0
    .max_flat_workgroup_size: 192
    .name:           fft_rtc_fwd_len192_factors_2_2_3_4_4_wgs_192_tpt_12_dim3_sp_ip_CI_unitstride_sbrr_dirReg
    .private_segment_fixed_size: 0
    .sgpr_count:     20
    .sgpr_spill_count: 0
    .symbol:         fft_rtc_fwd_len192_factors_2_2_3_4_4_wgs_192_tpt_12_dim3_sp_ip_CI_unitstride_sbrr_dirReg.kd
    .uniform_work_group_size: 1
    .uses_dynamic_stack: false
    .vgpr_count:     70
    .vgpr_spill_count: 0
    .wavefront_size: 64
amdhsa.target:   amdgcn-amd-amdhsa--gfx950
amdhsa.version:
  - 1
  - 2
...

	.end_amdgpu_metadata
